;; amdgpu-corpus repo=ROCm/rocFFT kind=compiled arch=gfx906 opt=O3
	.text
	.amdgcn_target "amdgcn-amd-amdhsa--gfx906"
	.amdhsa_code_object_version 6
	.protected	fft_rtc_back_len160_factors_4_10_4_wgs_192_tpt_16_sp_ip_CI_sbcc_twdbase5_3step_dirReg ; -- Begin function fft_rtc_back_len160_factors_4_10_4_wgs_192_tpt_16_sp_ip_CI_sbcc_twdbase5_3step_dirReg
	.globl	fft_rtc_back_len160_factors_4_10_4_wgs_192_tpt_16_sp_ip_CI_sbcc_twdbase5_3step_dirReg
	.p2align	8
	.type	fft_rtc_back_len160_factors_4_10_4_wgs_192_tpt_16_sp_ip_CI_sbcc_twdbase5_3step_dirReg,@function
fft_rtc_back_len160_factors_4_10_4_wgs_192_tpt_16_sp_ip_CI_sbcc_twdbase5_3step_dirReg: ; @fft_rtc_back_len160_factors_4_10_4_wgs_192_tpt_16_sp_ip_CI_sbcc_twdbase5_3step_dirReg
; %bb.0:
	s_load_dwordx8 s[8:15], s[4:5], 0x8
	s_movk_i32 s0, 0x60
	v_cmp_gt_u32_e64 s[0:1], s0, v0
	s_and_saveexec_b64 s[2:3], s[0:1]
	s_cbranch_execz .LBB0_2
; %bb.1:
	v_lshlrev_b32_e32 v3, 3, v0
	s_waitcnt lgkmcnt(0)
	global_load_dwordx2 v[1:2], v3, s[8:9]
	v_add_u32_e32 v3, 0, v3
	s_waitcnt vmcnt(0)
	ds_write_b64 v3, v[1:2] offset:15360
.LBB0_2:
	s_or_b64 exec, exec, s[2:3]
	s_waitcnt lgkmcnt(0)
	s_load_dwordx2 s[8:9], s[12:13], 0x8
	s_mov_b32 s7, 0
	s_mov_b64 s[26:27], 0
	s_waitcnt lgkmcnt(0)
	s_add_u32 s2, s8, -1
	s_addc_u32 s3, s9, -1
	s_add_u32 s16, 0, 0x55540000
	s_addc_u32 s17, 0, 0x55
	s_mul_hi_u32 s19, s16, -12
	s_add_i32 s17, s17, 0x15555500
	s_sub_i32 s19, s19, s16
	s_mul_i32 s22, s17, -12
	s_mul_i32 s18, s16, -12
	s_add_i32 s19, s19, s22
	s_mul_hi_u32 s20, s17, s18
	s_mul_i32 s21, s17, s18
	s_mul_i32 s23, s16, s19
	s_mul_hi_u32 s18, s16, s18
	s_mul_hi_u32 s22, s16, s19
	s_add_u32 s18, s18, s23
	s_addc_u32 s22, 0, s22
	s_add_u32 s18, s18, s21
	s_mul_hi_u32 s23, s17, s19
	s_addc_u32 s18, s22, s20
	s_addc_u32 s20, s23, 0
	s_mul_i32 s19, s17, s19
	s_add_u32 s18, s18, s19
	v_mov_b32_e32 v1, s18
	s_addc_u32 s19, 0, s20
	v_add_co_u32_e32 v1, vcc, s16, v1
	s_cmp_lg_u64 vcc, 0
	s_addc_u32 s16, s17, s19
	v_readfirstlane_b32 s19, v1
	s_mul_i32 s18, s2, s16
	s_mul_hi_u32 s20, s2, s19
	s_mul_hi_u32 s17, s2, s16
	s_add_u32 s18, s20, s18
	s_addc_u32 s17, 0, s17
	s_mul_hi_u32 s21, s3, s19
	s_mul_i32 s19, s3, s19
	s_add_u32 s18, s18, s19
	s_mul_hi_u32 s20, s3, s16
	s_addc_u32 s17, s17, s21
	s_addc_u32 s18, s20, 0
	s_mul_i32 s16, s3, s16
	s_add_u32 s16, s17, s16
	s_addc_u32 s17, 0, s18
	s_add_u32 s18, s16, 1
	s_addc_u32 s19, s17, 0
	s_add_u32 s20, s16, 2
	s_mul_i32 s22, s17, 12
	s_mul_hi_u32 s23, s16, 12
	s_addc_u32 s21, s17, 0
	s_add_i32 s23, s23, s22
	s_mul_i32 s22, s16, 12
	v_mov_b32_e32 v1, s22
	v_sub_co_u32_e32 v1, vcc, s2, v1
	s_cmp_lg_u64 vcc, 0
	s_subb_u32 s2, s3, s23
	v_subrev_co_u32_e32 v2, vcc, 12, v1
	s_cmp_lg_u64 vcc, 0
	s_subb_u32 s3, s2, 0
	v_readfirstlane_b32 s22, v2
	s_cmp_gt_u32 s22, 11
	s_cselect_b32 s22, -1, 0
	s_cmp_eq_u32 s3, 0
	s_cselect_b32 s3, s22, -1
	s_cmp_lg_u32 s3, 0
	s_cselect_b32 s3, s20, s18
	s_cselect_b32 s18, s21, s19
	v_readfirstlane_b32 s19, v1
	s_cmp_gt_u32 s19, 11
	s_cselect_b32 s19, -1, 0
	s_cmp_eq_u32 s2, 0
	s_cselect_b32 s2, s19, -1
	s_cmp_lg_u32 s2, 0
	s_cselect_b32 s3, s3, s16
	s_cselect_b32 s2, s18, s17
	s_add_u32 s24, s3, 1
	s_addc_u32 s25, s2, 0
	v_mov_b32_e32 v1, s24
	v_mov_b32_e32 v2, s25
	v_cmp_lt_u64_e32 vcc, s[6:7], v[1:2]
	s_cbranch_vccnz .LBB0_4
; %bb.3:
	v_cvt_f32_u32_e32 v1, s24
	s_sub_i32 s2, 0, s24
	s_mov_b32 s27, s7
	v_rcp_iflag_f32_e32 v1, v1
	v_mul_f32_e32 v1, 0x4f7ffffe, v1
	v_cvt_u32_f32_e32 v1, v1
	v_readfirstlane_b32 s3, v1
	s_mul_i32 s2, s2, s3
	s_mul_hi_u32 s2, s3, s2
	s_add_i32 s3, s3, s2
	s_mul_hi_u32 s2, s6, s3
	s_mul_i32 s16, s2, s24
	s_sub_i32 s16, s6, s16
	s_add_i32 s3, s2, 1
	s_sub_i32 s17, s16, s24
	s_cmp_ge_u32 s16, s24
	s_cselect_b32 s2, s3, s2
	s_cselect_b32 s16, s17, s16
	s_add_i32 s3, s2, 1
	s_cmp_ge_u32 s16, s24
	s_cselect_b32 s26, s3, s2
.LBB0_4:
	s_mul_i32 s2, s26, s25
	s_mul_hi_u32 s3, s26, s24
	s_load_dwordx2 s[20:21], s[4:5], 0x58
	s_load_dwordx2 s[22:23], s[4:5], 0x0
	s_load_dwordx4 s[16:19], s[14:15], 0x0
	s_add_i32 s3, s3, s2
	s_mul_i32 s2, s26, s24
	s_sub_u32 s33, s6, s2
	s_subb_u32 s2, 0, s3
	s_mul_i32 s2, s2, 12
	s_mul_hi_u32 s38, s33, 12
	s_add_i32 s38, s38, s2
	s_mul_i32 s33, s33, 12
	s_waitcnt lgkmcnt(0)
	s_mul_i32 s2, s18, s38
	s_mul_hi_u32 s3, s18, s33
	s_add_i32 s2, s3, s2
	s_mul_i32 s3, s19, s33
	s_add_i32 s39, s2, s3
	v_cmp_lt_u64_e64 s[2:3], s[10:11], 3
	s_mul_i32 s40, s18, s33
	s_and_b64 vcc, exec, s[2:3]
	s_cbranch_vccnz .LBB0_14
; %bb.5:
	s_add_u32 s4, s14, 16
	s_addc_u32 s5, s15, 0
	s_add_u32 s12, s12, 16
	v_mov_b32_e32 v1, s10
	s_addc_u32 s13, s13, 0
	s_mov_b64 s[28:29], 2
	s_mov_b32 s30, 0
	v_mov_b32_e32 v2, s11
.LBB0_6:                                ; =>This Inner Loop Header: Depth=1
	s_load_dwordx2 s[34:35], s[12:13], 0x0
	s_waitcnt lgkmcnt(0)
	s_or_b64 s[2:3], s[26:27], s[34:35]
	s_mov_b32 s31, s3
	s_cmp_lg_u64 s[30:31], 0
	s_cbranch_scc0 .LBB0_11
; %bb.7:                                ;   in Loop: Header=BB0_6 Depth=1
	v_cvt_f32_u32_e32 v3, s34
	v_cvt_f32_u32_e32 v4, s35
	s_sub_u32 s2, 0, s34
	s_subb_u32 s3, 0, s35
	v_mac_f32_e32 v3, 0x4f800000, v4
	v_rcp_f32_e32 v3, v3
	v_mul_f32_e32 v3, 0x5f7ffffc, v3
	v_mul_f32_e32 v4, 0x2f800000, v3
	v_trunc_f32_e32 v4, v4
	v_mac_f32_e32 v3, 0xcf800000, v4
	v_cvt_u32_f32_e32 v4, v4
	v_cvt_u32_f32_e32 v3, v3
	v_readfirstlane_b32 s31, v4
	v_readfirstlane_b32 s36, v3
	s_mul_i32 s37, s2, s31
	s_mul_hi_u32 s42, s2, s36
	s_mul_i32 s41, s3, s36
	s_add_i32 s37, s42, s37
	s_mul_i32 s43, s2, s36
	s_add_i32 s37, s37, s41
	s_mul_hi_u32 s41, s36, s37
	s_mul_i32 s42, s36, s37
	s_mul_hi_u32 s36, s36, s43
	s_add_u32 s36, s36, s42
	s_addc_u32 s41, 0, s41
	s_mul_hi_u32 s44, s31, s43
	s_mul_i32 s43, s31, s43
	s_add_u32 s36, s36, s43
	s_mul_hi_u32 s42, s31, s37
	s_addc_u32 s36, s41, s44
	s_addc_u32 s41, s42, 0
	s_mul_i32 s37, s31, s37
	s_add_u32 s36, s36, s37
	s_addc_u32 s37, 0, s41
	v_add_co_u32_e32 v3, vcc, s36, v3
	s_cmp_lg_u64 vcc, 0
	s_addc_u32 s31, s31, s37
	v_readfirstlane_b32 s37, v3
	s_mul_i32 s36, s2, s31
	s_mul_hi_u32 s41, s2, s37
	s_add_i32 s36, s41, s36
	s_mul_i32 s3, s3, s37
	s_add_i32 s36, s36, s3
	s_mul_i32 s2, s2, s37
	s_mul_hi_u32 s41, s31, s2
	s_mul_i32 s42, s31, s2
	s_mul_i32 s44, s37, s36
	s_mul_hi_u32 s2, s37, s2
	s_mul_hi_u32 s43, s37, s36
	s_add_u32 s2, s2, s44
	s_addc_u32 s37, 0, s43
	s_add_u32 s2, s2, s42
	s_mul_hi_u32 s3, s31, s36
	s_addc_u32 s2, s37, s41
	s_addc_u32 s3, s3, 0
	s_mul_i32 s36, s31, s36
	s_add_u32 s2, s2, s36
	s_addc_u32 s3, 0, s3
	v_add_co_u32_e32 v3, vcc, s2, v3
	s_cmp_lg_u64 vcc, 0
	s_addc_u32 s2, s31, s3
	v_readfirstlane_b32 s36, v3
	s_mul_i32 s31, s26, s2
	s_mul_hi_u32 s37, s26, s36
	s_mul_hi_u32 s3, s26, s2
	s_add_u32 s31, s37, s31
	s_addc_u32 s3, 0, s3
	s_mul_hi_u32 s41, s27, s36
	s_mul_i32 s36, s27, s36
	s_add_u32 s31, s31, s36
	s_mul_hi_u32 s37, s27, s2
	s_addc_u32 s3, s3, s41
	s_addc_u32 s31, s37, 0
	s_mul_i32 s2, s27, s2
	s_add_u32 s36, s3, s2
	s_addc_u32 s31, 0, s31
	s_mul_i32 s2, s34, s31
	s_mul_hi_u32 s3, s34, s36
	s_add_i32 s2, s3, s2
	s_mul_i32 s3, s35, s36
	s_add_i32 s37, s2, s3
	s_mul_i32 s3, s34, s36
	v_mov_b32_e32 v3, s3
	s_sub_i32 s2, s27, s37
	v_sub_co_u32_e32 v3, vcc, s26, v3
	s_cmp_lg_u64 vcc, 0
	s_subb_u32 s41, s2, s35
	v_subrev_co_u32_e64 v4, s[2:3], s34, v3
	s_cmp_lg_u64 s[2:3], 0
	s_subb_u32 s2, s41, 0
	s_cmp_ge_u32 s2, s35
	v_readfirstlane_b32 s41, v4
	s_cselect_b32 s3, -1, 0
	s_cmp_ge_u32 s41, s34
	s_cselect_b32 s41, -1, 0
	s_cmp_eq_u32 s2, s35
	s_cselect_b32 s2, s41, s3
	s_add_u32 s3, s36, 1
	s_addc_u32 s41, s31, 0
	s_add_u32 s42, s36, 2
	s_addc_u32 s43, s31, 0
	s_cmp_lg_u32 s2, 0
	s_cselect_b32 s2, s42, s3
	s_cselect_b32 s3, s43, s41
	s_cmp_lg_u64 vcc, 0
	s_subb_u32 s37, s27, s37
	s_cmp_ge_u32 s37, s35
	v_readfirstlane_b32 s42, v3
	s_cselect_b32 s41, -1, 0
	s_cmp_ge_u32 s42, s34
	s_cselect_b32 s42, -1, 0
	s_cmp_eq_u32 s37, s35
	s_cselect_b32 s37, s42, s41
	s_cmp_lg_u32 s37, 0
	s_cselect_b32 s3, s3, s31
	s_cselect_b32 s2, s2, s36
	s_cbranch_execnz .LBB0_9
.LBB0_8:                                ;   in Loop: Header=BB0_6 Depth=1
	v_cvt_f32_u32_e32 v3, s34
	s_sub_i32 s2, 0, s34
	v_rcp_iflag_f32_e32 v3, v3
	v_mul_f32_e32 v3, 0x4f7ffffe, v3
	v_cvt_u32_f32_e32 v3, v3
	v_readfirstlane_b32 s3, v3
	s_mul_i32 s2, s2, s3
	s_mul_hi_u32 s2, s3, s2
	s_add_i32 s3, s3, s2
	s_mul_hi_u32 s2, s26, s3
	s_mul_i32 s31, s2, s34
	s_sub_i32 s31, s26, s31
	s_add_i32 s3, s2, 1
	s_sub_i32 s36, s31, s34
	s_cmp_ge_u32 s31, s34
	s_cselect_b32 s2, s3, s2
	s_cselect_b32 s31, s36, s31
	s_add_i32 s3, s2, 1
	s_cmp_ge_u32 s31, s34
	s_cselect_b32 s2, s3, s2
	s_mov_b32 s3, s30
.LBB0_9:                                ;   in Loop: Header=BB0_6 Depth=1
	s_mul_i32 s25, s34, s25
	s_mul_hi_u32 s31, s34, s24
	s_add_i32 s25, s31, s25
	s_mul_i32 s31, s35, s24
	s_add_i32 s25, s25, s31
	s_mul_i32 s31, s2, s35
	s_mul_hi_u32 s35, s2, s34
	s_load_dwordx2 s[36:37], s[4:5], 0x0
	s_add_i32 s31, s35, s31
	s_mul_i32 s35, s3, s34
	s_mul_i32 s24, s34, s24
	s_add_i32 s31, s31, s35
	s_mul_i32 s34, s2, s34
	s_sub_u32 s26, s26, s34
	s_subb_u32 s27, s27, s31
	s_waitcnt lgkmcnt(0)
	s_mul_i32 s27, s36, s27
	s_mul_hi_u32 s31, s36, s26
	s_add_i32 s27, s31, s27
	s_mul_i32 s31, s37, s26
	s_add_i32 s27, s27, s31
	s_mul_i32 s26, s36, s26
	s_add_u32 s40, s26, s40
	s_addc_u32 s39, s27, s39
	s_add_u32 s28, s28, 1
	s_addc_u32 s29, s29, 0
	;; [unrolled: 2-line block ×3, first 2 shown]
	v_cmp_ge_u64_e32 vcc, s[28:29], v[1:2]
	s_add_u32 s12, s12, 8
	s_addc_u32 s13, s13, 0
	s_cbranch_vccnz .LBB0_12
; %bb.10:                               ;   in Loop: Header=BB0_6 Depth=1
	s_mov_b64 s[26:27], s[2:3]
	s_branch .LBB0_6
.LBB0_11:                               ;   in Loop: Header=BB0_6 Depth=1
                                        ; implicit-def: $sgpr2_sgpr3
	s_branch .LBB0_8
.LBB0_12:
	v_mov_b32_e32 v1, s24
	v_mov_b32_e32 v2, s25
	v_cmp_lt_u64_e32 vcc, s[6:7], v[1:2]
	s_mov_b64 s[26:27], 0
	s_cbranch_vccnz .LBB0_14
; %bb.13:
	v_cvt_f32_u32_e32 v1, s24
	s_sub_i32 s2, 0, s24
	v_rcp_iflag_f32_e32 v1, v1
	v_mul_f32_e32 v1, 0x4f7ffffe, v1
	v_cvt_u32_f32_e32 v1, v1
	v_readfirstlane_b32 s3, v1
	s_mul_i32 s2, s2, s3
	s_mul_hi_u32 s2, s3, s2
	s_add_i32 s3, s3, s2
	s_mul_hi_u32 s2, s6, s3
	s_mul_i32 s4, s2, s24
	s_sub_i32 s4, s6, s4
	s_add_i32 s3, s2, 1
	s_sub_i32 s5, s4, s24
	s_cmp_ge_u32 s4, s24
	s_cselect_b32 s2, s3, s2
	s_cselect_b32 s4, s5, s4
	s_add_i32 s3, s2, 1
	s_cmp_ge_u32 s4, s24
	s_cselect_b32 s26, s3, s2
.LBB0_14:
	s_lshl_b64 s[2:3], s[10:11], 3
	s_add_u32 s2, s14, s2
	s_addc_u32 s3, s15, s3
	s_load_dwordx2 s[2:3], s[2:3], 0x0
	s_mov_b32 s4, 0x15555556
	v_mul_hi_u32 v59, v0, s4
	v_mov_b32_e32 v2, s38
	s_waitcnt lgkmcnt(0)
	s_mul_i32 s3, s3, s26
	s_mul_hi_u32 s4, s2, s26
	s_mul_i32 s2, s2, s26
	s_add_i32 s3, s4, s3
	s_add_u32 s4, s2, s40
	s_addc_u32 s5, s3, s39
	v_mul_u32_u24_e32 v1, 12, v59
	v_sub_u32_e32 v60, v0, v1
	s_add_u32 s2, s33, 12
	v_mov_b32_e32 v0, s8
	s_addc_u32 s3, s38, 0
	v_mov_b32_e32 v1, s9
	v_cmp_le_u64_e64 s[2:3], s[2:3], v[0:1]
	v_add_co_u32_e32 v12, vcc, s33, v60
	v_addc_co_u32_e32 v13, vcc, 0, v2, vcc
	s_and_b64 vcc, exec, s[2:3]
	v_add_u32_e32 v27, 16, v59
	s_cbranch_vccz .LBB0_18
; %bb.15:
	v_mad_u64_u32 v[0:1], s[6:7], s18, v60, 0
	v_mad_u64_u32 v[2:3], s[6:7], s16, v59, 0
	v_add_u32_e32 v7, 40, v59
	v_add_u32_e32 v14, 16, v59
	v_mad_u64_u32 v[4:5], s[6:7], s19, v60, v[1:2]
	v_mov_b32_e32 v1, v3
	v_mad_u64_u32 v[5:6], s[6:7], s17, v59, v[1:2]
	s_lshl_b64 s[6:7], s[4:5], 3
	s_add_u32 s10, s20, s6
	s_addc_u32 s6, s21, s7
	v_mov_b32_e32 v1, v4
	v_mov_b32_e32 v3, v5
	;; [unrolled: 1-line block ×3, first 2 shown]
	v_mad_u64_u32 v[4:5], s[6:7], s16, v7, 0
	v_lshlrev_b64 v[0:1], 3, v[0:1]
                                        ; implicit-def: $vgpr19
                                        ; implicit-def: $vgpr21
	v_add_co_u32_e32 v20, vcc, s10, v0
	v_addc_co_u32_e32 v22, vcc, v6, v1, vcc
	v_lshlrev_b64 v[0:1], 3, v[2:3]
	v_mov_b32_e32 v2, v5
	v_mad_u64_u32 v[2:3], s[6:7], s17, v7, v[2:3]
	v_add_u32_e32 v3, 0x50, v59
	v_mad_u64_u32 v[6:7], s[6:7], s16, v3, 0
	v_add_co_u32_e32 v23, vcc, v20, v0
	v_mov_b32_e32 v5, v2
	v_mov_b32_e32 v2, v7
	v_addc_co_u32_e32 v24, vcc, v22, v1, vcc
	v_lshlrev_b64 v[0:1], 3, v[4:5]
	v_mad_u64_u32 v[2:3], s[6:7], s17, v3, v[2:3]
	v_add_u32_e32 v5, 0x78, v59
	v_mad_u64_u32 v[3:4], s[6:7], s16, v5, 0
	v_mov_b32_e32 v7, v2
	v_add_co_u32_e32 v25, vcc, v20, v0
	v_mov_b32_e32 v2, v4
	v_mad_u64_u32 v[4:5], s[6:7], s17, v5, v[2:3]
	v_addc_co_u32_e32 v26, vcc, v22, v1, vcc
	v_lshlrev_b64 v[0:1], 3, v[6:7]
	v_mad_u64_u32 v[5:6], s[6:7], s16, v14, 0
	v_add_co_u32_e32 v28, vcc, v20, v0
	v_mov_b32_e32 v2, v6
	v_addc_co_u32_e32 v29, vcc, v22, v1, vcc
	v_lshlrev_b64 v[0:1], 3, v[3:4]
	v_mad_u64_u32 v[2:3], s[6:7], s17, v14, v[2:3]
	v_add_u32_e32 v7, 56, v59
	v_mad_u64_u32 v[3:4], s[6:7], s16, v7, 0
	v_add_co_u32_e32 v30, vcc, v20, v0
	v_mov_b32_e32 v6, v2
	v_mov_b32_e32 v2, v4
	v_addc_co_u32_e32 v31, vcc, v22, v1, vcc
	v_lshlrev_b64 v[0:1], 3, v[5:6]
	v_mad_u64_u32 v[4:5], s[6:7], s17, v7, v[2:3]
	v_or_b32_e32 v7, 0x60, v59
	v_mad_u64_u32 v[5:6], s[6:7], s16, v7, 0
	v_add_co_u32_e32 v32, vcc, v20, v0
	v_mov_b32_e32 v2, v6
	v_addc_co_u32_e32 v33, vcc, v22, v1, vcc
	v_lshlrev_b64 v[0:1], 3, v[3:4]
	v_mad_u64_u32 v[2:3], s[6:7], s17, v7, v[2:3]
	v_add_u32_e32 v7, 0x88, v59
	v_mad_u64_u32 v[3:4], s[6:7], s16, v7, 0
	v_add_co_u32_e32 v34, vcc, v20, v0
	v_mov_b32_e32 v6, v2
	v_mov_b32_e32 v2, v4
	v_addc_co_u32_e32 v35, vcc, v22, v1, vcc
	v_lshlrev_b64 v[0:1], 3, v[5:6]
	v_mad_u64_u32 v[4:5], s[6:7], s17, v7, v[2:3]
	v_add_co_u32_e32 v36, vcc, v20, v0
	v_addc_co_u32_e32 v37, vcc, v22, v1, vcc
	v_lshlrev_b64 v[0:1], 3, v[3:4]
	v_add_co_u32_e32 v38, vcc, v20, v0
	v_addc_co_u32_e32 v39, vcc, v22, v1, vcc
	global_load_dwordx2 v[4:5], v[23:24], off
	global_load_dwordx2 v[2:3], v[25:26], off
	;; [unrolled: 1-line block ×8, first 2 shown]
                                        ; implicit-def: $vgpr23
                                        ; implicit-def: $vgpr25
	s_and_saveexec_b64 s[6:7], s[0:1]
	s_cbranch_execz .LBB0_17
; %bb.16:
	v_or_b32_e32 v21, 32, v59
	v_mad_u64_u32 v[23:24], s[10:11], s16, v21, 0
	v_add_u32_e32 v30, 0x48, v59
	v_mad_u64_u32 v[25:26], s[10:11], s16, v30, 0
	v_mov_b32_e32 v19, v24
	v_mad_u64_u32 v[28:29], s[10:11], s17, v21, v[19:20]
	v_mov_b32_e32 v19, v26
	v_or_b32_e32 v21, 0x70, v59
	v_mov_b32_e32 v24, v28
	v_mad_u64_u32 v[28:29], s[10:11], s17, v30, v[19:20]
	v_mad_u64_u32 v[29:30], s[10:11], s16, v21, 0
	v_lshlrev_b64 v[23:24], 3, v[23:24]
	v_mov_b32_e32 v26, v28
	v_add_co_u32_e32 v31, vcc, v20, v23
	v_mov_b32_e32 v19, v30
	v_addc_co_u32_e32 v32, vcc, v22, v24, vcc
	v_lshlrev_b64 v[23:24], 3, v[25:26]
	v_mad_u64_u32 v[25:26], s[10:11], s17, v21, v[19:20]
	v_add_u32_e32 v21, 0x98, v59
	v_mad_u64_u32 v[33:34], s[10:11], s16, v21, 0
	v_mov_b32_e32 v30, v25
	v_add_co_u32_e32 v35, vcc, v20, v23
	v_mov_b32_e32 v19, v34
	v_mad_u64_u32 v[25:26], s[10:11], s17, v21, v[19:20]
	v_addc_co_u32_e32 v36, vcc, v22, v24, vcc
	v_lshlrev_b64 v[23:24], 3, v[29:30]
	v_mov_b32_e32 v34, v25
	v_add_co_u32_e32 v28, vcc, v20, v23
	v_addc_co_u32_e32 v29, vcc, v22, v24, vcc
	v_lshlrev_b64 v[23:24], 3, v[33:34]
	v_add_co_u32_e32 v33, vcc, v20, v23
	v_addc_co_u32_e32 v34, vcc, v22, v24, vcc
	global_load_dwordx2 v[25:26], v[31:32], off
	global_load_dwordx2 v[21:22], v[35:36], off
	;; [unrolled: 1-line block ×4, first 2 shown]
.LBB0_17:
	s_or_b64 exec, exec, s[6:7]
	s_cbranch_execz .LBB0_19
	s_branch .LBB0_26
.LBB0_18:
                                        ; implicit-def: $vgpr0
                                        ; implicit-def: $vgpr8
                                        ; implicit-def: $vgpr19
                                        ; implicit-def: $vgpr23
                                        ; implicit-def: $vgpr21
                                        ; implicit-def: $vgpr25
                                        ; implicit-def: $vgpr17
                                        ; implicit-def: $vgpr10
                                        ; implicit-def: $vgpr15
                                        ; implicit-def: $vgpr6
                                        ; implicit-def: $vgpr2
                                        ; implicit-def: $vgpr4
                                        ; implicit-def: $vgpr14
.LBB0_19:
	v_cmp_le_u64_e32 vcc, s[8:9], v[12:13]
                                        ; implicit-def: $vgpr14
	s_and_saveexec_b64 s[6:7], vcc
	s_xor_b64 s[6:7], exec, s[6:7]
; %bb.20:
	v_add_u32_e32 v14, 16, v59
                                        ; implicit-def: $vgpr27
; %bb.21:
	s_or_saveexec_b64 s[6:7], s[6:7]
                                        ; implicit-def: $vgpr0
                                        ; implicit-def: $vgpr8
                                        ; implicit-def: $vgpr19
                                        ; implicit-def: $vgpr23
                                        ; implicit-def: $vgpr21
                                        ; implicit-def: $vgpr25
                                        ; implicit-def: $vgpr17
                                        ; implicit-def: $vgpr10
                                        ; implicit-def: $vgpr15
                                        ; implicit-def: $vgpr6
                                        ; implicit-def: $vgpr2
                                        ; implicit-def: $vgpr4
	s_xor_b64 exec, exec, s[6:7]
	s_cbranch_execz .LBB0_25
; %bb.22:
	s_waitcnt vmcnt(4)
	v_mad_u64_u32 v[0:1], s[10:11], s18, v60, 0
	v_mad_u64_u32 v[2:3], s[10:11], s16, v59, 0
	v_add_u32_e32 v7, 40, v59
	v_mad_u64_u32 v[4:5], s[10:11], s19, v60, v[1:2]
	v_mov_b32_e32 v1, v3
	v_mad_u64_u32 v[5:6], s[10:11], s17, v59, v[1:2]
	s_lshl_b64 s[10:11], s[4:5], 3
	s_add_u32 s12, s20, s10
	s_addc_u32 s10, s21, s11
	v_mov_b32_e32 v1, v4
	v_mov_b32_e32 v3, v5
	;; [unrolled: 1-line block ×3, first 2 shown]
	v_mad_u64_u32 v[4:5], s[10:11], s16, v7, 0
	v_lshlrev_b64 v[0:1], 3, v[0:1]
	s_waitcnt vmcnt(1)
	v_mad_u64_u32 v[17:18], s[10:11], s16, v27, 0
	v_add_co_u32_e32 v14, vcc, s12, v0
	s_waitcnt vmcnt(0)
	v_addc_co_u32_e32 v20, vcc, v6, v1, vcc
	v_lshlrev_b64 v[0:1], 3, v[2:3]
	v_mov_b32_e32 v2, v5
	v_mad_u64_u32 v[2:3], s[10:11], s17, v7, v[2:3]
	v_add_u32_e32 v3, 0x50, v59
	v_mad_u64_u32 v[6:7], s[10:11], s16, v3, 0
	v_add_co_u32_e32 v8, vcc, v14, v0
	v_mov_b32_e32 v5, v2
	v_mov_b32_e32 v2, v7
	v_addc_co_u32_e32 v9, vcc, v20, v1, vcc
	v_lshlrev_b64 v[0:1], 3, v[4:5]
	v_mad_u64_u32 v[2:3], s[10:11], s17, v3, v[2:3]
	v_add_u32_e32 v5, 0x78, v59
	v_mad_u64_u32 v[3:4], s[10:11], s16, v5, 0
	v_mov_b32_e32 v7, v2
	v_add_co_u32_e32 v10, vcc, v14, v0
	v_mov_b32_e32 v2, v4
	v_mad_u64_u32 v[4:5], s[10:11], s17, v5, v[2:3]
	v_addc_co_u32_e32 v11, vcc, v20, v1, vcc
	v_lshlrev_b64 v[0:1], 3, v[6:7]
	v_add_co_u32_e32 v15, vcc, v14, v0
	v_addc_co_u32_e32 v16, vcc, v20, v1, vcc
	v_lshlrev_b64 v[0:1], 3, v[3:4]
	v_add_co_u32_e32 v21, vcc, v14, v0
	v_mov_b32_e32 v0, v18
	v_mad_u64_u32 v[18:19], s[10:11], s17, v27, v[0:1]
	v_add_u32_e32 v19, 56, v59
	v_mad_u64_u32 v[23:24], s[10:11], s16, v19, 0
	v_addc_co_u32_e32 v22, vcc, v20, v1, vcc
	global_load_dwordx2 v[4:5], v[8:9], off
	global_load_dwordx2 v[2:3], v[10:11], off
	;; [unrolled: 1-line block ×4, first 2 shown]
	v_mov_b32_e32 v10, v24
	v_mad_u64_u32 v[10:11], s[10:11], s17, v19, v[10:11]
	v_or_b32_e32 v11, 0x60, v59
	v_mad_u64_u32 v[15:16], s[10:11], s16, v11, 0
	v_mov_b32_e32 v24, v10
	v_lshlrev_b64 v[8:9], 3, v[17:18]
	v_mov_b32_e32 v10, v16
	v_mad_u64_u32 v[10:11], s[10:11], s17, v11, v[10:11]
	v_add_u32_e32 v11, 0x88, v59
	v_mad_u64_u32 v[17:18], s[10:11], s16, v11, 0
	v_add_co_u32_e32 v21, vcc, v14, v8
	v_addc_co_u32_e32 v22, vcc, v20, v9, vcc
	v_lshlrev_b64 v[8:9], 3, v[23:24]
	v_mov_b32_e32 v16, v10
	v_mov_b32_e32 v10, v18
	v_mad_u64_u32 v[10:11], s[10:11], s17, v11, v[10:11]
	v_add_co_u32_e32 v23, vcc, v14, v8
	v_addc_co_u32_e32 v24, vcc, v20, v9, vcc
	v_lshlrev_b64 v[8:9], 3, v[15:16]
	v_mov_b32_e32 v18, v10
	v_add_co_u32_e32 v25, vcc, v14, v8
	v_addc_co_u32_e32 v26, vcc, v20, v9, vcc
	v_lshlrev_b64 v[8:9], 3, v[17:18]
                                        ; implicit-def: $vgpr19
	v_add_co_u32_e32 v28, vcc, v14, v8
	v_addc_co_u32_e32 v29, vcc, v20, v9, vcc
	global_load_dwordx2 v[15:16], v[21:22], off
	global_load_dwordx2 v[10:11], v[23:24], off
	;; [unrolled: 1-line block ×4, first 2 shown]
                                        ; implicit-def: $vgpr23
                                        ; implicit-def: $vgpr21
                                        ; implicit-def: $vgpr25
	s_and_saveexec_b64 s[10:11], s[0:1]
	s_cbranch_execz .LBB0_24
; %bb.23:
	v_or_b32_e32 v25, 32, v59
	v_mad_u64_u32 v[21:22], s[12:13], s16, v25, 0
	v_add_u32_e32 v28, 0x48, v59
	v_mad_u64_u32 v[23:24], s[12:13], s16, v28, 0
	v_mov_b32_e32 v19, v22
	v_mad_u64_u32 v[25:26], s[12:13], s17, v25, v[19:20]
	v_mov_b32_e32 v19, v24
	v_or_b32_e32 v30, 0x70, v59
	v_mov_b32_e32 v22, v25
	v_mad_u64_u32 v[24:25], s[12:13], s17, v28, v[19:20]
	v_mad_u64_u32 v[25:26], s[12:13], s16, v30, 0
	v_lshlrev_b64 v[21:22], 3, v[21:22]
	v_add_co_u32_e32 v28, vcc, v14, v21
	v_mov_b32_e32 v19, v26
	v_addc_co_u32_e32 v29, vcc, v20, v22, vcc
	v_lshlrev_b64 v[21:22], 3, v[23:24]
	v_mad_u64_u32 v[23:24], s[12:13], s17, v30, v[19:20]
	v_add_u32_e32 v24, 0x98, v59
	v_mad_u64_u32 v[30:31], s[12:13], s16, v24, 0
	v_mov_b32_e32 v26, v23
	v_add_co_u32_e32 v32, vcc, v14, v21
	v_mov_b32_e32 v19, v31
	v_mad_u64_u32 v[23:24], s[12:13], s17, v24, v[19:20]
	v_addc_co_u32_e32 v33, vcc, v20, v22, vcc
	v_lshlrev_b64 v[21:22], 3, v[25:26]
	v_mov_b32_e32 v31, v23
	v_add_co_u32_e32 v34, vcc, v14, v21
	v_addc_co_u32_e32 v35, vcc, v20, v22, vcc
	v_lshlrev_b64 v[21:22], 3, v[30:31]
	v_add_co_u32_e32 v30, vcc, v14, v21
	v_addc_co_u32_e32 v31, vcc, v20, v22, vcc
	global_load_dwordx2 v[25:26], v[28:29], off
	global_load_dwordx2 v[21:22], v[32:33], off
	;; [unrolled: 1-line block ×4, first 2 shown]
.LBB0_24:
	s_or_b64 exec, exec, s[10:11]
	v_mov_b32_e32 v14, v27
.LBB0_25:
	s_or_b64 exec, exec, s[6:7]
.LBB0_26:
	s_waitcnt vmcnt(5)
	v_sub_f32_e32 v7, v5, v7
	s_waitcnt vmcnt(4)
	v_sub_f32_e32 v1, v3, v1
	v_sub_f32_e32 v6, v4, v6
	v_fma_f32 v5, v5, 2.0, -v7
	v_sub_f32_e32 v0, v2, v0
	v_fma_f32 v3, v3, 2.0, -v1
	v_fma_f32 v4, v4, 2.0, -v6
	v_fma_f32 v2, v2, 2.0, -v0
	v_sub_f32_e32 v28, v5, v3
	v_sub_f32_e32 v27, v4, v2
	v_fma_f32 v30, v5, 2.0, -v28
	v_add_f32_e32 v31, v6, v1
	s_waitcnt vmcnt(1)
	v_sub_f32_e32 v1, v16, v18
	s_waitcnt vmcnt(0)
	v_sub_f32_e32 v5, v11, v9
	v_fma_f32 v29, v4, 2.0, -v27
	v_sub_f32_e32 v32, v7, v0
	v_sub_f32_e32 v0, v15, v17
	v_fma_f32 v3, v16, 2.0, -v1
	v_sub_f32_e32 v4, v10, v8
	v_fma_f32 v8, v11, 2.0, -v5
	v_fma_f32 v33, v6, 2.0, -v31
	;; [unrolled: 1-line block ×4, first 2 shown]
	v_sub_f32_e32 v8, v3, v8
	v_add_f32_e32 v35, v0, v5
	v_fma_f32 v34, v7, 2.0, -v32
	v_sub_f32_e32 v7, v2, v6
	v_fma_f32 v10, v3, 2.0, -v8
	v_fma_f32 v37, v0, 2.0, -v35
	v_sub_f32_e32 v3, v25, v23
	v_sub_f32_e32 v0, v21, v19
	v_fma_f32 v9, v2, 2.0, -v7
	v_sub_f32_e32 v36, v1, v4
	v_fma_f32 v4, v25, 2.0, -v3
	v_fma_f32 v2, v21, 2.0, -v0
	s_movk_i32 s6, 0x180
	v_sub_f32_e32 v15, v4, v2
	v_mul_lo_u32 v2, v14, s6
	v_sub_f32_e32 v5, v26, v24
	v_fma_f32 v38, v1, 2.0, -v36
	v_sub_f32_e32 v1, v22, v20
	v_sub_f32_e32 v18, v5, v0
	v_mul_u32_u24_e32 v0, 48, v59
	v_fma_f32 v6, v26, 2.0, -v5
	v_fma_f32 v11, v22, 2.0, -v1
	v_add_f32_e32 v17, v3, v1
	v_lshl_add_u32 v1, v0, 3, 0
	v_lshlrev_b32_e32 v0, 3, v60
	v_sub_f32_e32 v16, v6, v11
	v_add_u32_e32 v11, v1, v0
	v_add_u32_e32 v2, 0, v2
	ds_write2_b64 v11, v[29:30], v[33:34] offset1:12
	ds_write2_b64 v11, v[27:28], v[31:32] offset0:24 offset1:36
	v_add_u32_e32 v11, v2, v0
	ds_write2_b64 v11, v[9:10], v[37:38] offset1:12
	ds_write2_b64 v11, v[7:8], v[35:36] offset0:24 offset1:36
	s_and_saveexec_b64 s[6:7], s[0:1]
	s_cbranch_execz .LBB0_28
; %bb.27:
	v_fma_f32 v7, v3, 2.0, -v17
	v_lshl_add_u32 v3, v60, 3, v1
	v_fma_f32 v8, v5, 2.0, -v18
	v_fma_f32 v5, v6, 2.0, -v16
	v_fma_f32 v4, v4, 2.0, -v15
	v_add_u32_e32 v3, 0x3000, v3
	ds_write2_b64 v3, v[4:5], v[7:8] offset1:12
	ds_write2_b64 v3, v[15:16], v[17:18] offset0:24 offset1:36
.LBB0_28:
	s_or_b64 exec, exec, s[6:7]
	v_and_b32_e32 v11, 3, v59
	v_mul_u32_u24_e32 v3, 9, v11
	v_lshlrev_b32_e32 v27, 3, v3
	s_waitcnt lgkmcnt(0)
	s_barrier
	global_load_dwordx4 v[3:6], v27, s[22:23] offset:16
	global_load_dwordx4 v[7:10], v27, s[22:23] offset:32
	;; [unrolled: 1-line block ×3, first 2 shown]
	global_load_dwordx4 v[23:26], v27, s[22:23]
	global_load_dwordx2 v[44:45], v27, s[22:23] offset:64
	v_mul_i32_i24_e32 v27, 0xfffffee0, v59
	s_movk_i32 s6, 0xfee0
	v_add3_u32 v27, v1, v27, v0
	v_mul_lo_u32 v1, v14, s6
	ds_read2st64_b64 v[28:31], v27 offset0:9 offset1:12
	ds_read2st64_b64 v[32:35], v27 offset0:15 offset1:18
	;; [unrolled: 1-line block ×3, first 2 shown]
	ds_read2st64_b64 v[40:43], v27 offset1:6
	v_add3_u32 v48, v2, v1, v0
	ds_read_b64 v[1:2], v48
	ds_read_b64 v[46:47], v27 offset:13824
	s_waitcnt vmcnt(0) lgkmcnt(0)
	s_barrier
	v_mul_f32_e32 v50, v6, v31
	v_mul_f32_e32 v52, v35, v10
	;; [unrolled: 1-line block ×13, first 2 shown]
	v_fmac_f32_e32 v50, v5, v30
	v_fmac_f32_e32 v52, v34, v9
	v_mul_f32_e32 v53, v37, v20
	v_mul_f32_e32 v20, v36, v20
	;; [unrolled: 1-line block ×3, first 2 shown]
	v_fmac_f32_e32 v49, v3, v28
	v_fma_f32 v3, v3, v29, -v4
	v_fma_f32 v4, v5, v31, -v6
	;; [unrolled: 1-line block ×4, first 2 shown]
	v_fmac_f32_e32 v54, v38, v21
	v_fma_f32 v8, v39, v21, -v22
	v_fmac_f32_e32 v55, v23, v1
	v_fmac_f32_e32 v56, v25, v42
	v_fma_f32 v1, v25, v43, -v26
	v_add_f32_e32 v9, v50, v52
	v_fmac_f32_e32 v51, v7, v32
	v_fma_f32 v7, v37, v19, -v20
	v_add_f32_e32 v10, v56, v54
	v_add_f32_e32 v20, v4, v6
	;; [unrolled: 1-line block ×4, first 2 shown]
	v_fma_f32 v31, -0.5, v9, v40
	v_fmac_f32_e32 v53, v36, v19
	v_fma_f32 v19, v23, v2, -v24
	v_sub_f32_e32 v24, v56, v50
	v_sub_f32_e32 v25, v54, v52
	;; [unrolled: 1-line block ×3, first 2 shown]
	v_fma_f32 v32, -0.5, v10, v40
	v_fma_f32 v33, -0.5, v20, v41
	;; [unrolled: 1-line block ×3, first 2 shown]
	v_add_f32_e32 v21, v22, v50
	v_mov_b32_e32 v22, v31
	v_sub_f32_e32 v30, v4, v6
	v_add_f32_e32 v9, v24, v25
	v_fmac_f32_e32 v31, 0x3f737871, v29
	v_mov_b32_e32 v24, v32
	v_fmac_f32_e32 v22, 0xbf737871, v29
	v_sub_f32_e32 v26, v50, v56
	v_sub_f32_e32 v28, v52, v54
	v_fmac_f32_e32 v32, 0xbf737871, v30
	v_fmac_f32_e32 v31, 0x3f167918, v30
	;; [unrolled: 1-line block ×4, first 2 shown]
	v_add_f32_e32 v23, v41, v1
	v_add_f32_e32 v10, v26, v28
	v_fmac_f32_e32 v32, 0x3f167918, v29
	v_fmac_f32_e32 v24, 0xbf167918, v29
	v_fmac_f32_e32 v31, 0x3e9e377a, v9
	v_fmac_f32_e32 v22, 0x3e9e377a, v9
	v_add_f32_e32 v9, v21, v52
	v_sub_f32_e32 v21, v50, v52
	v_mov_b32_e32 v28, v20
	v_fmac_f32_e32 v32, 0x3e9e377a, v10
	v_fmac_f32_e32 v24, 0x3e9e377a, v10
	v_sub_f32_e32 v10, v56, v54
	v_sub_f32_e32 v25, v1, v4
	;; [unrolled: 1-line block ×3, first 2 shown]
	v_add_f32_e32 v23, v23, v4
	v_sub_f32_e32 v1, v4, v1
	v_fmac_f32_e32 v28, 0xbf737871, v21
	v_sub_f32_e32 v4, v6, v8
	v_fmac_f32_e32 v20, 0x3f737871, v21
	v_add_f32_e32 v25, v25, v26
	v_mov_b32_e32 v26, v33
	v_fmac_f32_e32 v28, 0x3f167918, v10
	v_add_f32_e32 v1, v1, v4
	v_fmac_f32_e32 v20, 0xbf167918, v10
	v_mul_f32_e32 v57, v47, v45
	v_mul_f32_e32 v45, v46, v45
	v_fmac_f32_e32 v26, 0x3f737871, v10
	v_fmac_f32_e32 v33, 0xbf737871, v10
	v_fmac_f32_e32 v28, 0x3e9e377a, v1
	v_fmac_f32_e32 v20, 0x3e9e377a, v1
	v_add_f32_e32 v1, v51, v53
	v_fmac_f32_e32 v57, v46, v44
	v_fma_f32 v2, v47, v44, -v45
	v_fmac_f32_e32 v26, 0x3f167918, v21
	v_fmac_f32_e32 v33, 0xbf167918, v21
	v_add_f32_e32 v23, v23, v6
	v_fma_f32 v21, -0.5, v1, v55
	v_add_f32_e32 v23, v23, v8
	v_sub_f32_e32 v1, v3, v2
	v_mov_b32_e32 v4, v21
	v_sub_f32_e32 v6, v49, v51
	v_sub_f32_e32 v8, v57, v53
	v_fmac_f32_e32 v4, 0xbf737871, v1
	v_add_f32_e32 v6, v6, v8
	v_sub_f32_e32 v8, v5, v7
	v_fmac_f32_e32 v21, 0x3f737871, v1
	v_fmac_f32_e32 v4, 0xbf167918, v8
	;; [unrolled: 1-line block ×3, first 2 shown]
	v_add_f32_e32 v10, v49, v57
	v_fmac_f32_e32 v26, 0x3e9e377a, v25
	v_fmac_f32_e32 v33, 0x3e9e377a, v25
	;; [unrolled: 1-line block ×4, first 2 shown]
	v_add_f32_e32 v6, v55, v49
	v_fmac_f32_e32 v55, -0.5, v10
	v_sub_f32_e32 v10, v51, v49
	v_sub_f32_e32 v25, v53, v57
	v_add_f32_e32 v10, v10, v25
	v_mov_b32_e32 v25, v55
	v_fmac_f32_e32 v25, 0x3f737871, v8
	v_fmac_f32_e32 v55, 0xbf737871, v8
	;; [unrolled: 1-line block ×4, first 2 shown]
	v_add_f32_e32 v1, v6, v51
	v_add_f32_e32 v1, v1, v53
	;; [unrolled: 1-line block ×4, first 2 shown]
	v_fmac_f32_e32 v25, 0x3e9e377a, v10
	v_fmac_f32_e32 v55, 0x3e9e377a, v10
	v_fma_f32 v29, -0.5, v1, v19
	v_sub_f32_e32 v10, v3, v5
	v_sub_f32_e32 v30, v2, v7
	;; [unrolled: 1-line block ×3, first 2 shown]
	v_add_f32_e32 v10, v10, v30
	v_mov_b32_e32 v30, v29
	v_sub_f32_e32 v8, v51, v53
	v_fmac_f32_e32 v30, 0x3f737871, v1
	v_fmac_f32_e32 v29, 0xbf737871, v1
	;; [unrolled: 1-line block ×6, first 2 shown]
	v_add_f32_e32 v10, v19, v3
	v_add_f32_e32 v34, v3, v2
	v_fmac_f32_e32 v19, -0.5, v34
	v_add_f32_e32 v10, v10, v5
	v_add_f32_e32 v10, v10, v7
	v_mov_b32_e32 v34, v19
	v_add_f32_e32 v10, v10, v2
	v_sub_f32_e32 v3, v5, v3
	v_fmac_f32_e32 v34, 0xbf737871, v8
	v_sub_f32_e32 v2, v7, v2
	v_fmac_f32_e32 v34, 0x3f167918, v1
	v_add_f32_e32 v2, v3, v2
	v_fmac_f32_e32 v34, 0x3e9e377a, v2
	v_fmac_f32_e32 v19, 0x3f737871, v8
	v_mul_f32_e32 v8, 0xbf167918, v30
	v_mul_f32_e32 v30, 0x3f4f1bbd, v30
	v_add_f32_e32 v9, v9, v54
	v_fmac_f32_e32 v19, 0xbf167918, v1
	v_fmac_f32_e32 v30, 0x3f167918, v4
	v_mul_f32_e32 v35, 0xbf737871, v34
	v_mul_f32_e32 v34, 0x3e9e377a, v34
	v_fmac_f32_e32 v19, 0x3e9e377a, v2
	v_add_f32_e32 v1, v9, v6
	v_fmac_f32_e32 v8, 0x3f4f1bbd, v4
	v_add_f32_e32 v2, v23, v10
	v_sub_f32_e32 v5, v9, v6
	v_sub_f32_e32 v6, v23, v10
	v_fmac_f32_e32 v34, 0x3f737871, v25
	v_add_f32_e32 v4, v26, v30
	v_sub_f32_e32 v10, v26, v30
	v_mul_f32_e32 v30, 0xbf167918, v29
	v_add_f32_e32 v3, v22, v8
	v_sub_f32_e32 v9, v22, v8
	v_fmac_f32_e32 v30, 0xbf4f1bbd, v21
	v_add_f32_e32 v8, v28, v34
	v_sub_f32_e32 v26, v28, v34
	v_mul_f32_e32 v34, 0xbf4f1bbd, v29
	v_add_f32_e32 v28, v31, v30
	v_fmac_f32_e32 v34, 0x3f167918, v21
	v_sub_f32_e32 v21, v31, v30
	v_lshrrev_b32_e32 v30, 2, v59
	v_mul_u32_u24_e32 v30, 40, v30
	v_or_b32_e32 v11, v30, v11
	v_mul_f32_e32 v36, 0xbf737871, v19
	v_mul_f32_e32 v22, 0xbe9e377a, v19
	v_mul_u32_u24_e32 v11, 0x60, v11
	v_fmac_f32_e32 v35, 0x3e9e377a, v25
	v_fmac_f32_e32 v36, 0xbe9e377a, v55
	;; [unrolled: 1-line block ×3, first 2 shown]
	v_add3_u32 v0, 0, v11, v0
	v_add_f32_e32 v7, v24, v35
	v_add_f32_e32 v23, v32, v36
	v_sub_f32_e32 v25, v24, v35
	v_add_f32_e32 v24, v20, v22
	v_add_f32_e32 v29, v33, v34
	ds_write2_b64 v0, v[1:2], v[3:4] offset1:48
	ds_write2_b64 v0, v[7:8], v[23:24] offset0:96 offset1:144
	ds_write2_b64 v0, v[28:29], v[5:6] offset0:192 offset1:240
	v_add_u32_e32 v0, 0x800, v0
	v_add_u32_e32 v8, 0x100, v27
	v_sub_f32_e32 v19, v32, v36
	v_sub_f32_e32 v20, v20, v22
	;; [unrolled: 1-line block ×3, first 2 shown]
	ds_write2_b64 v0, v[9:10], v[25:26] offset0:32 offset1:80
	ds_write2_b64 v0, v[19:20], v[21:22] offset0:128 offset1:176
	s_waitcnt lgkmcnt(0)
	s_barrier
	ds_read2st64_b64 v[0:3], v8 offset0:7 offset1:10
	ds_read2st64_b64 v[4:7], v27 offset0:15 offset1:18
	;; [unrolled: 1-line block ×3, first 2 shown]
	ds_read_b64 v[25:26], v27
	ds_read_b64 v[23:24], v48
	s_and_saveexec_b64 s[6:7], s[0:1]
	s_cbranch_execz .LBB0_30
; %bb.29:
	v_add_u32_e32 v17, 0xc00, v27
	ds_read_b64 v[21:22], v27 offset:6912
	ds_read_b64 v[15:16], v27 offset:10752
	ds_read_b64 v[19:20], v17
	ds_read_b64 v[17:18], v27 offset:14592
.LBB0_30:
	s_or_b64 exec, exec, s[6:7]
	v_mul_u32_u24_e32 v27, 3, v59
	v_lshlrev_b32_e32 v31, 3, v27
	s_mov_b32 s6, 0xcccccccd
	global_load_dwordx4 v[27:30], v31, s[22:23] offset:288
	global_load_dwordx2 v[35:36], v31, s[22:23] offset:304
	v_mul_hi_u32 v31, v14, s6
	v_mov_b32_e32 v32, 0
	v_mov_b32_e32 v33, s23
	v_or_b32_e32 v61, 32, v59
	v_lshrrev_b32_e32 v62, 5, v31
	v_mul_lo_u32 v31, v62, 40
	s_mov_b32 s7, 0x6666667
	v_mul_lo_u32 v48, v12, 40
	s_add_i32 s6, 0, 0x3c00
	v_sub_u32_e32 v47, v14, v31
	v_lshl_add_u32 v31, v47, 1, v47
	v_lshlrev_b64 v[31:32], 3, v[31:32]
	v_add_co_u32_e32 v37, vcc, s22, v31
	v_addc_co_u32_e32 v38, vcc, v33, v32, vcc
	global_load_dwordx4 v[31:34], v[37:38], off offset:288
	global_load_dwordx2 v[39:40], v[37:38], off offset:304
	v_mul_lo_u32 v37, v59, v12
	v_mul_hi_u32 v38, v61, s7
	s_andn2_b64 vcc, exec, s[2:3]
	v_and_b32_e32 v41, 31, v37
	v_lshrrev_b32_e32 v42, 2, v37
	v_lshrrev_b32_e32 v43, 7, v37
	v_add_u32_e32 v49, v37, v48
	v_mul_u32_u24_e32 v37, 40, v38
	v_lshl_add_u32 v38, v41, 3, 0
	v_and_b32_e32 v41, 0xf8, v42
	v_and_b32_e32 v42, 0xf8, v43
	v_add_u32_e32 v41, s6, v41
	v_sub_u32_e32 v50, v61, v37
	v_add_u32_e32 v44, s6, v42
	ds_read_b64 v[37:38], v38 offset:15360
	ds_read_b64 v[41:42], v41 offset:256
	v_and_b32_e32 v43, 31, v49
	v_lshl_add_u32 v45, v43, 3, 0
	ds_read_b64 v[43:44], v44 offset:512
	ds_read_b64 v[45:46], v45 offset:15360
	v_mul_u32_u24_e32 v51, 3, v50
	s_waitcnt lgkmcnt(2)
	v_mul_f32_e32 v52, v38, v42
	v_lshlrev_b32_e32 v51, 3, v51
	s_waitcnt vmcnt(3)
	v_mul_f32_e32 v53, v28, v1
	v_mul_f32_e32 v28, v28, v0
	;; [unrolled: 1-line block ×4, first 2 shown]
	s_waitcnt vmcnt(2)
	v_mul_f32_e32 v55, v36, v9
	v_mul_f32_e32 v36, v36, v8
	v_fmac_f32_e32 v53, v27, v0
	v_fma_f32 v0, v27, v1, -v28
	v_fmac_f32_e32 v54, v29, v4
	v_fma_f32 v1, v29, v5, -v30
	;; [unrolled: 2-line block ×3, first 2 shown]
	v_sub_f32_e32 v5, v25, v54
	v_sub_f32_e32 v1, v26, v1
	;; [unrolled: 1-line block ×4, first 2 shown]
	v_fma_f32 v9, v25, 2.0, -v5
	v_fma_f32 v25, v26, 2.0, -v1
	;; [unrolled: 1-line block ×4, first 2 shown]
	v_add_f32_e32 v27, v5, v4
	v_sub_f32_e32 v28, v1, v8
	v_sub_f32_e32 v26, v9, v26
	;; [unrolled: 1-line block ×3, first 2 shown]
	v_fma_f32 v30, v5, 2.0, -v27
	v_fma_f32 v35, v1, 2.0, -v28
	;; [unrolled: 1-line block ×4, first 2 shown]
	s_waitcnt vmcnt(1)
	v_mul_f32_e32 v4, v32, v3
	v_mul_f32_e32 v5, v32, v2
	;; [unrolled: 1-line block ×3, first 2 shown]
	s_waitcnt vmcnt(0)
	v_mul_f32_e32 v25, v40, v11
	v_fmac_f32_e32 v4, v31, v2
	v_fma_f32 v2, v31, v3, -v5
	v_fma_f32 v3, v33, v7, -v9
	v_fmac_f32_e32 v25, v39, v10
	v_mul_f32_e32 v8, v34, v7
	v_mul_f32_e32 v32, v40, v10
	v_sub_f32_e32 v3, v24, v3
	v_sub_f32_e32 v7, v4, v25
	v_fmac_f32_e32 v8, v33, v6
	v_fma_f32 v5, v39, v11, -v32
	v_sub_f32_e32 v58, v3, v7
	v_sub_f32_e32 v6, v23, v8
	;; [unrolled: 1-line block ×3, first 2 shown]
	v_fma_f32 v9, v24, 2.0, -v3
	v_fma_f32 v32, v3, 2.0, -v58
	v_mul_f32_e32 v3, v37, v42
	v_fma_f32 v8, v23, 2.0, -v6
	v_fma_f32 v4, v4, 2.0, -v7
	;; [unrolled: 1-line block ×3, first 2 shown]
	v_fmac_f32_e32 v3, v38, v41
	v_sub_f32_e32 v40, v8, v4
	v_sub_f32_e32 v53, v9, v2
	v_fma_f32 v2, v37, v41, -v52
	s_waitcnt lgkmcnt(1)
	v_mul_f32_e32 v4, v3, v44
	v_add_f32_e32 v39, v6, v5
	v_fma_f32 v5, v43, v2, -v4
	v_mul_f32_e32 v2, v2, v44
	v_fmac_f32_e32 v2, v43, v3
	v_mul_f32_e32 v4, v1, v2
	v_fmac_f32_e32 v4, v0, v5
	v_mul_f32_e32 v0, v0, v2
	v_fma_f32 v5, v1, v5, -v0
	v_lshrrev_b32_e32 v1, 7, v49
	v_lshrrev_b32_e32 v0, 2, v49
	v_and_b32_e32 v1, 0xf8, v1
	v_add_u32_e32 v23, v49, v48
	v_and_b32_e32 v0, 0xf8, v0
	v_add_u32_e32 v2, s6, v1
	v_and_b32_e32 v1, 31, v23
	v_fma_f32 v31, v6, 2.0, -v39
	v_add_u32_e32 v0, s6, v0
	v_lshl_add_u32 v6, v1, 3, 0
	v_lshrrev_b32_e32 v1, 2, v23
	v_and_b32_e32 v3, 0xf8, v1
	ds_read_b64 v[0:1], v0 offset:256
	v_fma_f32 v33, v8, 2.0, -v40
	v_fma_f32 v34, v9, 2.0, -v53
	v_add_u32_e32 v7, s6, v3
	ds_read_b64 v[2:3], v2 offset:512
	ds_read_b64 v[8:9], v6 offset:15360
	;; [unrolled: 1-line block ×3, first 2 shown]
	s_waitcnt lgkmcnt(3)
	v_mul_f32_e32 v6, v46, v1
	v_mul_f32_e32 v1, v45, v1
	v_fma_f32 v6, v45, v0, -v6
	v_fmac_f32_e32 v1, v46, v0
	s_waitcnt lgkmcnt(2)
	v_mul_f32_e32 v0, v1, v3
	v_mul_f32_e32 v3, v6, v3
	v_fmac_f32_e32 v3, v2, v1
	v_fma_f32 v0, v2, v6, -v0
	v_mul_f32_e32 v6, v35, v3
	v_mul_f32_e32 v1, v30, v3
	v_fmac_f32_e32 v6, v30, v0
	v_fma_f32 v7, v35, v0, -v1
	s_waitcnt lgkmcnt(0)
	v_mul_f32_e32 v0, v9, v11
	v_fma_f32 v25, v8, v10, -v0
	v_lshrrev_b32_e32 v0, 7, v23
	v_add_u32_e32 v1, v23, v48
	v_and_b32_e32 v0, 0xf8, v0
	v_lshrrev_b32_e32 v3, 2, v1
	v_add_u32_e32 v0, s6, v0
	v_and_b32_e32 v2, 31, v1
	v_and_b32_e32 v3, 0xf8, v3
	v_lshrrev_b32_e32 v1, 7, v1
	v_mul_f32_e32 v11, v8, v11
	v_add_u32_e32 v8, s6, v3
	v_and_b32_e32 v3, 0xf8, v1
	ds_read_b64 v[0:1], v0 offset:512
	v_lshl_add_u32 v2, v2, 3, 0
	v_fmac_f32_e32 v11, v9, v10
	v_add_u32_e32 v10, s6, v3
	ds_read_b64 v[2:3], v2 offset:15360
	ds_read_b64 v[8:9], v8 offset:256
	;; [unrolled: 1-line block ×3, first 2 shown]
	s_waitcnt lgkmcnt(3)
	v_mul_f32_e32 v10, v11, v1
	v_mul_f32_e32 v1, v25, v1
	v_fmac_f32_e32 v1, v0, v11
	v_fma_f32 v30, v0, v25, -v10
	v_mul_f32_e32 v10, v29, v1
	v_mul_f32_e32 v0, v26, v1
	s_waitcnt lgkmcnt(1)
	v_mul_f32_e32 v1, v2, v9
	v_fma_f32 v11, v29, v30, -v0
	v_mul_f32_e32 v0, v3, v9
	v_fmac_f32_e32 v1, v3, v8
	v_fma_f32 v0, v2, v8, -v0
	s_waitcnt lgkmcnt(0)
	v_mul_f32_e32 v2, v1, v24
	v_fma_f32 v2, v23, v0, -v2
	v_mul_f32_e32 v0, v0, v24
	v_fmac_f32_e32 v0, v23, v1
	v_mul_lo_u32 v1, v47, v12
	v_mul_f32_e32 v8, v28, v0
	v_mul_f32_e32 v0, v27, v0
	v_fmac_f32_e32 v8, v27, v2
	v_fma_f32 v9, v28, v2, -v0
	v_lshrrev_b32_e32 v2, 2, v1
	v_and_b32_e32 v0, 31, v1
	v_and_b32_e32 v2, 0xf8, v2
	v_lshrrev_b32_e32 v3, 7, v1
	v_lshl_add_u32 v0, v0, 3, 0
	v_add_u32_e32 v2, s6, v2
	v_and_b32_e32 v3, 0xf8, v3
	v_add_u32_e32 v23, s6, v3
	v_add_u32_e32 v27, v1, v48
	ds_read_b64 v[0:1], v0 offset:15360
	ds_read_b64 v[2:3], v2 offset:256
	v_and_b32_e32 v24, 31, v27
	v_lshl_add_u32 v25, v24, 3, 0
	v_fmac_f32_e32 v10, v26, v30
	ds_read_b64 v[23:24], v23 offset:512
	ds_read_b64 v[25:26], v25 offset:15360
	s_waitcnt lgkmcnt(2)
	v_mul_f32_e32 v28, v1, v3
	v_fma_f32 v28, v0, v2, -v28
	v_mul_f32_e32 v0, v0, v3
	v_fmac_f32_e32 v0, v1, v2
	s_waitcnt lgkmcnt(1)
	v_mul_f32_e32 v2, v28, v24
	v_mul_f32_e32 v1, v0, v24
	v_fmac_f32_e32 v2, v23, v0
	v_fma_f32 v1, v23, v28, -v1
	v_mul_f32_e32 v23, v34, v2
	v_mul_f32_e32 v0, v33, v2
	v_fmac_f32_e32 v23, v33, v1
	v_fma_f32 v24, v34, v1, -v0
	v_lshrrev_b32_e32 v1, 7, v27
	v_lshrrev_b32_e32 v0, 2, v27
	v_and_b32_e32 v1, 0xf8, v1
	v_add_u32_e32 v33, v27, v48
	v_and_b32_e32 v0, 0xf8, v0
	v_add_u32_e32 v2, s6, v1
	;; [unrolled: 2-line block ×3, first 2 shown]
	v_lshl_add_u32 v27, v1, 3, 0
	v_lshrrev_b32_e32 v1, 2, v33
	v_and_b32_e32 v3, 0xf8, v1
	ds_read_b64 v[0:1], v0 offset:256
	v_add_u32_e32 v29, s6, v3
	ds_read_b64 v[2:3], v2 offset:512
	ds_read_b64 v[27:28], v27 offset:15360
	;; [unrolled: 1-line block ×3, first 2 shown]
	s_waitcnt lgkmcnt(3)
	v_mul_f32_e32 v34, v26, v1
	v_mul_f32_e32 v1, v25, v1
	v_fma_f32 v34, v25, v0, -v34
	v_fmac_f32_e32 v1, v26, v0
	s_waitcnt lgkmcnt(2)
	v_mul_f32_e32 v0, v1, v3
	v_mul_f32_e32 v3, v34, v3
	v_fmac_f32_e32 v3, v2, v1
	v_fma_f32 v0, v2, v34, -v0
	v_mul_f32_e32 v25, v32, v3
	v_mul_f32_e32 v1, v31, v3
	v_fmac_f32_e32 v25, v31, v0
	v_fma_f32 v26, v32, v0, -v1
	s_waitcnt lgkmcnt(0)
	v_mul_f32_e32 v0, v28, v30
	v_fma_f32 v37, v27, v29, -v0
	v_mul_f32_e32 v38, v27, v30
	v_lshrrev_b32_e32 v0, 7, v33
	v_fmac_f32_e32 v38, v28, v29
	v_and_b32_e32 v0, 0xf8, v0
	v_add_u32_e32 v28, v33, v48
	v_add_u32_e32 v27, s6, v0
	v_and_b32_e32 v0, 31, v28
	v_lshl_add_u32 v31, v0, 3, 0
	v_lshrrev_b32_e32 v0, 2, v28
	v_and_b32_e32 v32, 0xf8, v0
	global_load_dwordx2 v[29:30], v51, s[22:23] offset:304
	global_load_dwordx4 v[0:3], v51, s[22:23] offset:288
	v_lshrrev_b32_e32 v28, 7, v28
	v_add_u32_e32 v33, s6, v32
	v_and_b32_e32 v32, 0xf8, v28
	ds_read_b64 v[27:28], v27 offset:512
	v_add_u32_e32 v35, s6, v32
	ds_read_b64 v[31:32], v31 offset:15360
	ds_read_b64 v[33:34], v33 offset:256
	;; [unrolled: 1-line block ×3, first 2 shown]
	s_waitcnt lgkmcnt(3)
	v_mul_f32_e32 v41, v38, v28
	v_mul_f32_e32 v28, v37, v28
	v_fmac_f32_e32 v28, v27, v38
	v_fma_f32 v41, v27, v37, -v41
	v_mul_f32_e32 v55, v53, v28
	v_mul_f32_e32 v27, v40, v28
	s_waitcnt lgkmcnt(1)
	v_mul_f32_e32 v28, v31, v34
	v_fma_f32 v56, v53, v41, -v27
	v_mul_f32_e32 v27, v32, v34
	v_fmac_f32_e32 v28, v32, v33
	v_fma_f32 v27, v31, v33, -v27
	s_waitcnt lgkmcnt(0)
	v_mul_f32_e32 v31, v28, v36
	v_fma_f32 v63, v35, v27, -v31
	v_mul_f32_e32 v27, v27, v36
	v_fmac_f32_e32 v27, v35, v28
	v_mul_lo_u32 v28, v50, v12
	v_mul_f32_e32 v57, v58, v27
	v_fmac_f32_e32 v55, v40, v41
	v_fmac_f32_e32 v57, v39, v63
	v_and_b32_e32 v31, 31, v28
	v_lshrrev_b32_e32 v32, 2, v28
	v_lshrrev_b32_e32 v33, 7, v28
	v_add_u32_e32 v28, v28, v48
	v_and_b32_e32 v32, 0xf8, v32
	v_and_b32_e32 v33, 0xf8, v33
	;; [unrolled: 1-line block ×3, first 2 shown]
	v_lshl_add_u32 v31, v31, 3, 0
	v_add_u32_e32 v32, s6, v32
	v_add_u32_e32 v33, s6, v33
	v_lshl_add_u32 v34, v34, 3, 0
	ds_read_b64 v[49:50], v31 offset:15360
	ds_read_b64 v[51:52], v32 offset:256
	;; [unrolled: 1-line block ×4, first 2 shown]
	v_lshrrev_b32_e32 v31, 2, v28
	v_lshrrev_b32_e32 v32, 7, v28
	v_add_u32_e32 v28, v28, v48
	v_and_b32_e32 v31, 0xf8, v31
	v_and_b32_e32 v35, 31, v28
	v_lshrrev_b32_e32 v36, 2, v28
	v_add_u32_e32 v31, s6, v31
	v_and_b32_e32 v32, 0xf8, v32
	v_lshl_add_u32 v35, v35, 3, 0
	v_and_b32_e32 v36, 0xf8, v36
	v_mul_f32_e32 v27, v39, v27
	v_add_u32_e32 v32, s6, v32
	v_add_u32_e32 v37, s6, v36
	ds_read_b64 v[53:54], v31 offset:256
	ds_read_b64 v[45:46], v32 offset:512
	;; [unrolled: 1-line block ×4, first 2 shown]
	v_lshrrev_b32_e32 v31, 7, v28
	v_add_u32_e32 v28, v28, v48
	v_lshrrev_b32_e32 v37, 2, v28
	v_and_b32_e32 v31, 0xf8, v31
	v_and_b32_e32 v32, 31, v28
	;; [unrolled: 1-line block ×3, first 2 shown]
	v_lshrrev_b32_e32 v28, 7, v28
	v_add_u32_e32 v31, s6, v31
	v_lshl_add_u32 v32, v32, 3, 0
	v_add_u32_e32 v41, s6, v37
	v_and_b32_e32 v28, 0xf8, v28
	v_add_u32_e32 v28, s6, v28
	ds_read_b64 v[47:48], v31 offset:512
	ds_read_b64 v[37:38], v32 offset:15360
	ds_read_b64 v[41:42], v41 offset:256
	ds_read_b64 v[31:32], v28 offset:512
	v_fma_f32 v58, v58, v63, -v27
	s_cbranch_vccnz .LBB0_32
; %bb.31:
	v_mad_u64_u32 v[27:28], s[2:3], s18, v60, 0
	v_mad_u64_u32 v[63:64], s[2:3], s16, v59, 0
	s_waitcnt vmcnt(1)
	v_mad_u64_u32 v[65:66], s[2:3], s19, v60, v[28:29]
	v_mov_b32_e32 v28, v64
	v_mad_u64_u32 v[66:67], s[2:3], s17, v59, v[28:29]
	v_mov_b32_e32 v28, v65
	s_lshl_b64 s[2:3], s[4:5], 3
	s_add_u32 s2, s20, s2
	v_lshlrev_b64 v[27:28], 3, v[27:28]
	s_addc_u32 s3, s21, s3
	v_mov_b32_e32 v65, s3
	v_add_co_u32_e32 v27, vcc, s2, v27
	v_add_u32_e32 v67, 40, v59
	v_mov_b32_e32 v64, v66
	v_addc_co_u32_e32 v28, vcc, v65, v28, vcc
	v_mad_u64_u32 v[65:66], s[2:3], s16, v67, 0
	v_add_u32_e32 v69, 0x50, v59
	v_lshlrev_b64 v[63:64], 3, v[63:64]
	v_mad_u64_u32 v[66:67], s[2:3], s17, v67, v[66:67]
	v_mad_u64_u32 v[67:68], s[2:3], s16, v69, 0
	v_add_co_u32_e32 v63, vcc, v27, v63
	v_addc_co_u32_e32 v64, vcc, v28, v64, vcc
	global_store_dwordx2 v[63:64], v[4:5], off
	v_lshlrev_b64 v[63:64], 3, v[65:66]
	v_mov_b32_e32 v65, v68
	v_mad_u64_u32 v[65:66], s[2:3], s17, v69, v[65:66]
	v_add_co_u32_e32 v63, vcc, v27, v63
	v_addc_co_u32_e32 v64, vcc, v28, v64, vcc
	v_mov_b32_e32 v68, v65
	global_store_dwordx2 v[63:64], v[6:7], off
	v_lshlrev_b64 v[63:64], 3, v[67:68]
	v_add_u32_e32 v67, 0x78, v59
	v_mad_u64_u32 v[65:66], s[2:3], s16, v67, 0
	v_add_co_u32_e32 v63, vcc, v27, v63
	v_addc_co_u32_e32 v64, vcc, v28, v64, vcc
	global_store_dwordx2 v[63:64], v[10:11], off
	v_mov_b32_e32 v63, v66
	v_mad_u64_u32 v[63:64], s[2:3], s17, v67, v[63:64]
	s_movk_i32 s2, 0x78
	v_mad_u64_u32 v[67:68], s[2:3], v62, s2, v[14:15]
	v_mov_b32_e32 v66, v63
	v_lshlrev_b64 v[63:64], 3, v[65:66]
	v_mad_u64_u32 v[65:66], s[2:3], s16, v67, 0
	v_add_u32_e32 v71, 40, v67
	v_add_co_u32_e32 v63, vcc, v27, v63
	v_mad_u64_u32 v[68:69], s[2:3], s17, v67, v[66:67]
	v_mad_u64_u32 v[69:70], s[2:3], s16, v71, 0
	v_addc_co_u32_e32 v64, vcc, v28, v64, vcc
	v_mov_b32_e32 v66, v68
	global_store_dwordx2 v[63:64], v[8:9], off
	v_lshlrev_b64 v[63:64], 3, v[65:66]
	v_mov_b32_e32 v65, v70
	v_mad_u64_u32 v[65:66], s[2:3], s17, v71, v[65:66]
	v_add_u32_e32 v68, 0x50, v67
	v_add_co_u32_e32 v63, vcc, v27, v63
	v_mov_b32_e32 v70, v65
	v_mad_u64_u32 v[65:66], s[2:3], s16, v68, 0
	v_addc_co_u32_e32 v64, vcc, v28, v64, vcc
	global_store_dwordx2 v[63:64], v[23:24], off
	v_lshlrev_b64 v[63:64], 3, v[69:70]
	v_mad_u64_u32 v[68:69], s[2:3], s17, v68, v[66:67]
	v_add_u32_e32 v67, 0x78, v67
	v_mad_u64_u32 v[69:70], s[2:3], s16, v67, 0
	v_add_co_u32_e32 v63, vcc, v27, v63
	v_addc_co_u32_e32 v64, vcc, v28, v64, vcc
	v_mov_b32_e32 v66, v68
	global_store_dwordx2 v[63:64], v[25:26], off
	v_lshlrev_b64 v[63:64], 3, v[65:66]
	v_mov_b32_e32 v65, v70
	v_mad_u64_u32 v[65:66], s[2:3], s17, v67, v[65:66]
	v_add_co_u32_e32 v63, vcc, v27, v63
	v_addc_co_u32_e32 v64, vcc, v28, v64, vcc
	v_mov_b32_e32 v70, v65
	global_store_dwordx2 v[63:64], v[55:56], off
	v_lshlrev_b64 v[63:64], 3, v[69:70]
	v_add_co_u32_e32 v63, vcc, v27, v63
	v_addc_co_u32_e32 v64, vcc, v28, v64, vcc
	s_and_b64 s[2:3], s[0:1], exec
	global_store_dwordx2 v[63:64], v[57:58], off
	s_cbranch_execz .LBB0_33
	s_branch .LBB0_36
.LBB0_32:
	s_mov_b64 s[2:3], 0
                                        ; implicit-def: $vgpr27_vgpr28
.LBB0_33:
	v_cmp_gt_u64_e32 vcc, s[8:9], v[12:13]
                                        ; implicit-def: $vgpr27_vgpr28
	s_and_saveexec_b64 s[6:7], vcc
	s_cbranch_execz .LBB0_35
; %bb.34:
	v_mad_u64_u32 v[12:13], s[8:9], s18, v60, 0
	v_mad_u64_u32 v[63:64], s[8:9], s16, v59, 0
	v_mad_u64_u32 v[27:28], s[8:9], s19, v60, v[13:14]
	v_mov_b32_e32 v13, v64
	v_mad_u64_u32 v[64:65], s[8:9], s17, v59, v[13:14]
	v_mov_b32_e32 v13, v27
	s_lshl_b64 s[4:5], s[4:5], 3
	s_add_u32 s4, s20, s4
	v_lshlrev_b64 v[12:13], 3, v[12:13]
	s_addc_u32 s5, s21, s5
	v_mov_b32_e32 v28, s5
	v_add_co_u32_e32 v27, vcc, s4, v12
	v_add_u32_e32 v65, 40, v59
	v_addc_co_u32_e32 v28, vcc, v28, v13, vcc
	v_lshlrev_b64 v[12:13], 3, v[63:64]
	v_mad_u64_u32 v[63:64], s[4:5], s16, v65, 0
	v_add_co_u32_e32 v12, vcc, v27, v12
	v_mov_b32_e32 v60, v64
	v_mad_u64_u32 v[64:65], s[4:5], s17, v65, v[60:61]
	v_add_u32_e32 v60, 0x50, v59
	v_mad_u64_u32 v[65:66], s[4:5], s16, v60, 0
	v_addc_co_u32_e32 v13, vcc, v28, v13, vcc
	global_store_dwordx2 v[12:13], v[4:5], off
	v_mov_b32_e32 v12, v66
	v_mad_u64_u32 v[12:13], s[4:5], s17, v60, v[12:13]
	v_lshlrev_b64 v[4:5], 3, v[63:64]
	s_andn2_b64 s[2:3], s[2:3], exec
	v_add_co_u32_e32 v4, vcc, v27, v4
	v_addc_co_u32_e32 v5, vcc, v28, v5, vcc
	v_mov_b32_e32 v66, v12
	v_add_u32_e32 v12, 0x78, v59
	global_store_dwordx2 v[4:5], v[6:7], off
	v_lshlrev_b64 v[4:5], 3, v[65:66]
	v_mad_u64_u32 v[6:7], s[4:5], s16, v12, 0
	v_add_co_u32_e32 v4, vcc, v27, v4
	v_addc_co_u32_e32 v5, vcc, v28, v5, vcc
	global_store_dwordx2 v[4:5], v[10:11], off
	v_mov_b32_e32 v4, v7
	v_mad_u64_u32 v[4:5], s[4:5], s17, v12, v[4:5]
	s_movk_i32 s4, 0x78
	v_mad_u64_u32 v[10:11], s[4:5], v62, s4, v[14:15]
	v_mov_b32_e32 v7, v4
	v_lshlrev_b64 v[4:5], 3, v[6:7]
	v_mad_u64_u32 v[6:7], s[4:5], s16, v10, 0
	v_add_u32_e32 v14, 40, v10
	v_add_co_u32_e32 v4, vcc, v27, v4
	v_mad_u64_u32 v[11:12], s[4:5], s17, v10, v[7:8]
	v_mad_u64_u32 v[12:13], s[4:5], s16, v14, 0
	v_addc_co_u32_e32 v5, vcc, v28, v5, vcc
	v_mov_b32_e32 v7, v11
	global_store_dwordx2 v[4:5], v[8:9], off
	v_lshlrev_b64 v[4:5], 3, v[6:7]
	v_mov_b32_e32 v6, v13
	v_mad_u64_u32 v[6:7], s[4:5], s17, v14, v[6:7]
	v_add_u32_e32 v8, 0x50, v10
	v_add_co_u32_e32 v4, vcc, v27, v4
	v_mov_b32_e32 v13, v6
	v_mad_u64_u32 v[6:7], s[4:5], s16, v8, 0
	v_addc_co_u32_e32 v5, vcc, v28, v5, vcc
	v_mad_u64_u32 v[7:8], s[4:5], s17, v8, v[7:8]
	v_add_u32_e32 v10, 0x78, v10
	global_store_dwordx2 v[4:5], v[23:24], off
	v_lshlrev_b64 v[4:5], 3, v[12:13]
	v_mad_u64_u32 v[8:9], s[4:5], s16, v10, 0
	v_add_co_u32_e32 v4, vcc, v27, v4
	v_addc_co_u32_e32 v5, vcc, v28, v5, vcc
	global_store_dwordx2 v[4:5], v[25:26], off
	v_lshlrev_b64 v[4:5], 3, v[6:7]
	v_mov_b32_e32 v6, v9
	v_mad_u64_u32 v[6:7], s[4:5], s17, v10, v[6:7]
	v_add_co_u32_e32 v4, vcc, v27, v4
	v_addc_co_u32_e32 v5, vcc, v28, v5, vcc
	v_mov_b32_e32 v9, v6
	global_store_dwordx2 v[4:5], v[55:56], off
	v_lshlrev_b64 v[4:5], 3, v[8:9]
	s_and_b64 s[0:1], s[0:1], exec
	v_add_co_u32_e32 v4, vcc, v27, v4
	v_addc_co_u32_e32 v5, vcc, v28, v5, vcc
	s_or_b64 s[2:3], s[2:3], s[0:1]
	global_store_dwordx2 v[4:5], v[57:58], off
.LBB0_35:
	s_or_b64 exec, exec, s[6:7]
.LBB0_36:
	s_and_saveexec_b64 s[0:1], s[2:3]
	s_cbranch_execnz .LBB0_38
; %bb.37:
	s_endpgm
.LBB0_38:
	s_waitcnt vmcnt(0)
	v_mul_f32_e32 v4, v22, v1
	v_mul_f32_e32 v1, v21, v1
	v_fmac_f32_e32 v4, v21, v0
	v_fma_f32 v0, v22, v0, -v1
	v_mul_f32_e32 v1, v16, v3
	v_mul_f32_e32 v3, v15, v3
	;; [unrolled: 1-line block ×3, first 2 shown]
	v_fmac_f32_e32 v1, v15, v2
	v_fma_f32 v2, v16, v2, -v3
	v_mul_f32_e32 v3, v18, v30
	v_fma_f32 v5, v18, v29, -v5
	v_fmac_f32_e32 v3, v17, v29
	v_sub_f32_e32 v2, v20, v2
	v_sub_f32_e32 v5, v0, v5
	;; [unrolled: 1-line block ×3, first 2 shown]
	v_fma_f32 v7, v20, 2.0, -v2
	v_sub_f32_e32 v3, v4, v3
	v_fma_f32 v0, v0, 2.0, -v5
	v_fma_f32 v6, v19, 2.0, -v1
	;; [unrolled: 1-line block ×3, first 2 shown]
	v_sub_f32_e32 v9, v7, v0
	v_add_f32_e32 v10, v1, v5
	s_waitcnt lgkmcnt(10)
	v_mul_f32_e32 v0, v50, v52
	v_sub_f32_e32 v8, v6, v4
	v_sub_f32_e32 v13, v2, v3
	v_fma_f32 v3, v1, 2.0, -v10
	v_fma_f32 v0, v49, v51, -v0
	v_mul_f32_e32 v1, v49, v52
	v_fma_f32 v4, v6, 2.0, -v8
	v_fma_f32 v6, v7, 2.0, -v9
	v_fmac_f32_e32 v1, v50, v51
	s_waitcnt lgkmcnt(9)
	v_mul_f32_e32 v7, v0, v44
	v_fma_f32 v5, v2, 2.0, -v13
	v_mul_f32_e32 v2, v1, v44
	v_fmac_f32_e32 v7, v43, v1
	v_fma_f32 v2, v43, v0, -v2
	v_mul_f32_e32 v0, v6, v7
	v_mul_f32_e32 v1, v4, v7
	v_fmac_f32_e32 v0, v4, v2
	v_fma_f32 v1, v6, v2, -v1
	s_waitcnt lgkmcnt(7)
	v_mul_f32_e32 v2, v34, v54
	v_fma_f32 v2, v33, v53, -v2
	v_mul_f32_e32 v4, v33, v54
	v_fmac_f32_e32 v4, v34, v53
	s_waitcnt lgkmcnt(6)
	v_mul_f32_e32 v7, v2, v46
	v_mul_f32_e32 v6, v4, v46
	v_fmac_f32_e32 v7, v45, v4
	v_fma_f32 v6, v45, v2, -v6
	v_mul_f32_e32 v2, v5, v7
	v_fmac_f32_e32 v2, v3, v6
	v_mul_f32_e32 v3, v3, v7
	s_waitcnt lgkmcnt(4)
	v_mul_f32_e32 v4, v36, v40
	v_fma_f32 v3, v5, v6, -v3
	v_fma_f32 v4, v35, v39, -v4
	v_mul_f32_e32 v5, v35, v40
	v_fmac_f32_e32 v5, v36, v39
	s_waitcnt lgkmcnt(3)
	v_mul_f32_e32 v7, v4, v48
	v_mul_f32_e32 v6, v5, v48
	v_fmac_f32_e32 v7, v47, v5
	v_fma_f32 v6, v47, v4, -v6
	v_mul_f32_e32 v4, v9, v7
	v_mul_f32_e32 v5, v8, v7
	v_fmac_f32_e32 v4, v8, v6
	v_fma_f32 v5, v9, v6, -v5
	s_waitcnt lgkmcnt(1)
	v_mul_f32_e32 v6, v38, v42
	v_mul_f32_e32 v7, v37, v42
	v_fma_f32 v6, v37, v41, -v6
	v_fmac_f32_e32 v7, v38, v41
	s_waitcnt lgkmcnt(0)
	v_mul_f32_e32 v8, v7, v32
	v_mul_f32_e32 v11, v6, v32
	v_fma_f32 v9, v31, v6, -v8
	v_fmac_f32_e32 v11, v31, v7
	v_mad_u64_u32 v[6:7], s[0:1], s16, v61, 0
	v_mul_f32_e32 v8, v13, v11
	v_fmac_f32_e32 v8, v10, v9
	v_mul_f32_e32 v14, v10, v11
	v_mad_u64_u32 v[10:11], s[0:1], s17, v61, v[7:8]
	v_add_u32_e32 v15, 0x48, v59
	v_mad_u64_u32 v[11:12], s[0:1], s16, v15, 0
	v_mov_b32_e32 v7, v10
	v_lshlrev_b64 v[6:7], 3, v[6:7]
	v_mov_b32_e32 v10, v12
	v_add_co_u32_e32 v6, vcc, v27, v6
	v_fma_f32 v9, v13, v9, -v14
	v_mad_u64_u32 v[12:13], s[0:1], s17, v15, v[10:11]
	v_addc_co_u32_e32 v7, vcc, v28, v7, vcc
	v_or_b32_e32 v10, 0x70, v59
	global_store_dwordx2 v[6:7], v[0:1], off
	v_mad_u64_u32 v[6:7], s[0:1], s16, v10, 0
	v_lshlrev_b64 v[0:1], 3, v[11:12]
	v_add_u32_e32 v13, 0x98, v59
	v_mad_u64_u32 v[10:11], s[0:1], s17, v10, v[7:8]
	v_mad_u64_u32 v[11:12], s[0:1], s16, v13, 0
	v_add_co_u32_e32 v0, vcc, v27, v0
	v_addc_co_u32_e32 v1, vcc, v28, v1, vcc
	global_store_dwordx2 v[0:1], v[2:3], off
	v_mov_b32_e32 v2, v12
	v_mov_b32_e32 v7, v10
	v_mad_u64_u32 v[2:3], s[0:1], s17, v13, v[2:3]
	v_lshlrev_b64 v[0:1], 3, v[6:7]
	v_add_co_u32_e32 v0, vcc, v27, v0
	v_addc_co_u32_e32 v1, vcc, v28, v1, vcc
	v_mov_b32_e32 v12, v2
	global_store_dwordx2 v[0:1], v[4:5], off
	v_lshlrev_b64 v[0:1], 3, v[11:12]
	v_add_co_u32_e32 v0, vcc, v27, v0
	v_addc_co_u32_e32 v1, vcc, v28, v1, vcc
	global_store_dwordx2 v[0:1], v[8:9], off
	s_endpgm
	.section	.rodata,"a",@progbits
	.p2align	6, 0x0
	.amdhsa_kernel fft_rtc_back_len160_factors_4_10_4_wgs_192_tpt_16_sp_ip_CI_sbcc_twdbase5_3step_dirReg
		.amdhsa_group_segment_fixed_size 0
		.amdhsa_private_segment_fixed_size 0
		.amdhsa_kernarg_size 96
		.amdhsa_user_sgpr_count 6
		.amdhsa_user_sgpr_private_segment_buffer 1
		.amdhsa_user_sgpr_dispatch_ptr 0
		.amdhsa_user_sgpr_queue_ptr 0
		.amdhsa_user_sgpr_kernarg_segment_ptr 1
		.amdhsa_user_sgpr_dispatch_id 0
		.amdhsa_user_sgpr_flat_scratch_init 0
		.amdhsa_user_sgpr_private_segment_size 0
		.amdhsa_uses_dynamic_stack 0
		.amdhsa_system_sgpr_private_segment_wavefront_offset 0
		.amdhsa_system_sgpr_workgroup_id_x 1
		.amdhsa_system_sgpr_workgroup_id_y 0
		.amdhsa_system_sgpr_workgroup_id_z 0
		.amdhsa_system_sgpr_workgroup_info 0
		.amdhsa_system_vgpr_workitem_id 0
		.amdhsa_next_free_vgpr 72
		.amdhsa_next_free_sgpr 45
		.amdhsa_reserve_vcc 1
		.amdhsa_reserve_flat_scratch 0
		.amdhsa_float_round_mode_32 0
		.amdhsa_float_round_mode_16_64 0
		.amdhsa_float_denorm_mode_32 3
		.amdhsa_float_denorm_mode_16_64 3
		.amdhsa_dx10_clamp 1
		.amdhsa_ieee_mode 1
		.amdhsa_fp16_overflow 0
		.amdhsa_exception_fp_ieee_invalid_op 0
		.amdhsa_exception_fp_denorm_src 0
		.amdhsa_exception_fp_ieee_div_zero 0
		.amdhsa_exception_fp_ieee_overflow 0
		.amdhsa_exception_fp_ieee_underflow 0
		.amdhsa_exception_fp_ieee_inexact 0
		.amdhsa_exception_int_div_zero 0
	.end_amdhsa_kernel
	.text
.Lfunc_end0:
	.size	fft_rtc_back_len160_factors_4_10_4_wgs_192_tpt_16_sp_ip_CI_sbcc_twdbase5_3step_dirReg, .Lfunc_end0-fft_rtc_back_len160_factors_4_10_4_wgs_192_tpt_16_sp_ip_CI_sbcc_twdbase5_3step_dirReg
                                        ; -- End function
	.section	.AMDGPU.csdata,"",@progbits
; Kernel info:
; codeLenInByte = 8480
; NumSgprs: 49
; NumVgprs: 72
; ScratchSize: 0
; MemoryBound: 0
; FloatMode: 240
; IeeeMode: 1
; LDSByteSize: 0 bytes/workgroup (compile time only)
; SGPRBlocks: 6
; VGPRBlocks: 17
; NumSGPRsForWavesPerEU: 49
; NumVGPRsForWavesPerEU: 72
; Occupancy: 3
; WaveLimiterHint : 1
; COMPUTE_PGM_RSRC2:SCRATCH_EN: 0
; COMPUTE_PGM_RSRC2:USER_SGPR: 6
; COMPUTE_PGM_RSRC2:TRAP_HANDLER: 0
; COMPUTE_PGM_RSRC2:TGID_X_EN: 1
; COMPUTE_PGM_RSRC2:TGID_Y_EN: 0
; COMPUTE_PGM_RSRC2:TGID_Z_EN: 0
; COMPUTE_PGM_RSRC2:TIDIG_COMP_CNT: 0
	.type	__hip_cuid_54b8f59080f6843e,@object ; @__hip_cuid_54b8f59080f6843e
	.section	.bss,"aw",@nobits
	.globl	__hip_cuid_54b8f59080f6843e
__hip_cuid_54b8f59080f6843e:
	.byte	0                               ; 0x0
	.size	__hip_cuid_54b8f59080f6843e, 1

	.ident	"AMD clang version 19.0.0git (https://github.com/RadeonOpenCompute/llvm-project roc-6.4.0 25133 c7fe45cf4b819c5991fe208aaa96edf142730f1d)"
	.section	".note.GNU-stack","",@progbits
	.addrsig
	.addrsig_sym __hip_cuid_54b8f59080f6843e
	.amdgpu_metadata
---
amdhsa.kernels:
  - .args:
      - .actual_access:  read_only
        .address_space:  global
        .offset:         0
        .size:           8
        .value_kind:     global_buffer
      - .address_space:  global
        .offset:         8
        .size:           8
        .value_kind:     global_buffer
      - .offset:         16
        .size:           8
        .value_kind:     by_value
      - .actual_access:  read_only
        .address_space:  global
        .offset:         24
        .size:           8
        .value_kind:     global_buffer
      - .actual_access:  read_only
        .address_space:  global
        .offset:         32
        .size:           8
        .value_kind:     global_buffer
      - .offset:         40
        .size:           8
        .value_kind:     by_value
      - .actual_access:  read_only
        .address_space:  global
        .offset:         48
        .size:           8
        .value_kind:     global_buffer
      - .actual_access:  read_only
        .address_space:  global
        .offset:         56
        .size:           8
        .value_kind:     global_buffer
      - .offset:         64
        .size:           4
        .value_kind:     by_value
      - .actual_access:  read_only
        .address_space:  global
        .offset:         72
        .size:           8
        .value_kind:     global_buffer
      - .actual_access:  read_only
        .address_space:  global
        .offset:         80
        .size:           8
        .value_kind:     global_buffer
      - .address_space:  global
        .offset:         88
        .size:           8
        .value_kind:     global_buffer
    .group_segment_fixed_size: 0
    .kernarg_segment_align: 8
    .kernarg_segment_size: 96
    .language:       OpenCL C
    .language_version:
      - 2
      - 0
    .max_flat_workgroup_size: 192
    .name:           fft_rtc_back_len160_factors_4_10_4_wgs_192_tpt_16_sp_ip_CI_sbcc_twdbase5_3step_dirReg
    .private_segment_fixed_size: 0
    .sgpr_count:     49
    .sgpr_spill_count: 0
    .symbol:         fft_rtc_back_len160_factors_4_10_4_wgs_192_tpt_16_sp_ip_CI_sbcc_twdbase5_3step_dirReg.kd
    .uniform_work_group_size: 1
    .uses_dynamic_stack: false
    .vgpr_count:     72
    .vgpr_spill_count: 0
    .wavefront_size: 64
amdhsa.target:   amdgcn-amd-amdhsa--gfx906
amdhsa.version:
  - 1
  - 2
...

	.end_amdgpu_metadata
